;; amdgpu-corpus repo=ROCm/hipCUB kind=compiled arch=gfx906 opt=O3
	.amdgcn_target "amdgcn-amd-amdhsa--gfx906"
	.amdhsa_code_object_version 6
	.text
	.protected	_Z17KernelGridBarrierN6hipcub11GridBarrierEi ; -- Begin function _Z17KernelGridBarrierN6hipcub11GridBarrierEi
	.globl	_Z17KernelGridBarrierN6hipcub11GridBarrierEi
	.p2align	8
	.type	_Z17KernelGridBarrierN6hipcub11GridBarrierEi,@function
_Z17KernelGridBarrierN6hipcub11GridBarrierEi: ; @_Z17KernelGridBarrierN6hipcub11GridBarrierEi
; %bb.0:
	s_load_dword s24, s[4:5], 0x8
	s_waitcnt lgkmcnt(0)
	s_cmp_lt_i32 s24, 1
	s_cbranch_scc1 .LBB0_24
; %bb.1:
	s_load_dwordx2 s[8:9], s[4:5], 0x0
	s_mov_b32 s7, 0
	s_cmp_lg_u32 s6, 0
	s_cselect_b64 s[10:11], -1, 0
	s_lshl_b64 s[2:3], s[6:7], 2
	s_waitcnt lgkmcnt(0)
	s_add_u32 s12, s8, s2
	s_addc_u32 s13, s9, s3
	s_add_u32 s4, s4, 16
	v_cmp_eq_u32_e64 s[0:1], 0, v0
	s_addc_u32 s5, s5, 0
	v_mov_b32_e32 v5, 1
	v_mov_b32_e32 v2, 0
	s_branch .LBB0_4
.LBB0_2:                                ;   in Loop: Header=BB0_4 Depth=1
	s_or_b64 exec, exec, s[2:3]
.LBB0_3:                                ;   in Loop: Header=BB0_4 Depth=1
	s_add_i32 s7, s7, 1
	s_cmp_eq_u32 s7, s24
	s_cbranch_scc1 .LBB0_24
.LBB0_4:                                ; =>This Loop Header: Depth=1
                                        ;     Child Loop BB0_17 Depth 2
                                        ;       Child Loop BB0_19 Depth 3
                                        ;     Child Loop BB0_23 Depth 2
                                        ;     Child Loop BB0_8 Depth 2
	s_and_b64 vcc, exec, s[10:11]
	buffer_wbinvl1_vol
	s_barrier
	s_cbranch_vccz .LBB0_11
; %bb.5:                                ;   in Loop: Header=BB0_4 Depth=1
	s_and_saveexec_b64 s[2:3], s[0:1]
	s_cbranch_execz .LBB0_10
; %bb.6:                                ;   in Loop: Header=BB0_4 Depth=1
	v_mov_b32_e32 v3, s12
	v_mov_b32_e32 v4, s13
	s_mov_b64 s[14:15], 0
	flat_store_dword v[3:4], v5
	s_waitcnt vmcnt(0)
                                        ; implicit-def: $sgpr16_sgpr17
	s_branch .LBB0_8
.LBB0_7:                                ;   in Loop: Header=BB0_8 Depth=2
	s_or_b64 exec, exec, s[18:19]
	s_and_b64 s[18:19], exec, s[16:17]
	s_or_b64 s[14:15], s[18:19], s[14:15]
	s_andn2_b64 exec, exec, s[14:15]
	s_cbranch_execz .LBB0_10
.LBB0_8:                                ;   Parent Loop BB0_4 Depth=1
                                        ; =>  This Inner Loop Header: Depth=2
	v_mov_b32_e32 v3, s12
	v_mov_b32_e32 v4, s13
	;;#ASMSTART
	flat_load_dword v1, v[3:4] glc slc
	"s_waitcnt"(0)
	;;#ASMEND
	v_cmp_eq_u32_e32 vcc, 1, v1
	s_or_b64 s[16:17], s[16:17], exec
	s_and_saveexec_b64 s[18:19], vcc
	s_cbranch_execz .LBB0_7
; %bb.9:                                ;   in Loop: Header=BB0_8 Depth=2
	s_andn2_b64 s[16:17], s[16:17], exec
	s_waitcnt lgkmcnt(0)
	s_branch .LBB0_7
.LBB0_10:                               ;   in Loop: Header=BB0_4 Depth=1
	s_or_b64 exec, exec, s[2:3]
	s_waitcnt lgkmcnt(0)
	s_barrier
	s_branch .LBB0_3
.LBB0_11:                               ;   in Loop: Header=BB0_4 Depth=1
	s_cbranch_execz .LBB0_3
; %bb.12:                               ;   in Loop: Header=BB0_4 Depth=1
	s_and_saveexec_b64 s[2:3], s[0:1]
	s_cbranch_execz .LBB0_14
; %bb.13:                               ;   in Loop: Header=BB0_4 Depth=1
	v_mov_b32_e32 v3, s8
	v_mov_b32_e32 v4, s9
	flat_store_dword v[3:4], v5
	s_waitcnt vmcnt(0)
.LBB0_14:                               ;   in Loop: Header=BB0_4 Depth=1
	s_or_b64 exec, exec, s[2:3]
	s_waitcnt lgkmcnt(0)
	s_barrier
	s_load_dword s6, s[4:5], 0x0
	s_waitcnt lgkmcnt(0)
	v_cmp_gt_u32_e32 vcc, s6, v0
	s_and_saveexec_b64 s[14:15], vcc
	s_cbranch_execz .LBB0_21
; %bb.15:                               ;   in Loop: Header=BB0_4 Depth=1
	s_mov_b64 s[16:17], 0
	v_mov_b32_e32 v1, v0
	s_branch .LBB0_17
.LBB0_16:                               ;   in Loop: Header=BB0_17 Depth=2
	s_or_b64 exec, exec, s[18:19]
	s_load_dword s2, s[4:5], 0xc
	s_waitcnt lgkmcnt(0)
	s_and_b32 s2, s2, 0xffff
	v_add_u32_e32 v1, s2, v1
	v_cmp_le_u32_e64 s[2:3], s6, v1
	s_or_b64 s[16:17], s[2:3], s[16:17]
	s_andn2_b64 exec, exec, s[16:17]
	s_cbranch_execz .LBB0_21
.LBB0_17:                               ;   Parent Loop BB0_4 Depth=1
                                        ; =>  This Loop Header: Depth=2
                                        ;       Child Loop BB0_19 Depth 3
	v_lshlrev_b64 v[3:4], 2, v[1:2]
	v_mov_b32_e32 v6, s9
	v_add_co_u32_e64 v3, s[2:3], s8, v3
	v_addc_co_u32_e64 v4, s[2:3], v6, v4, s[2:3]
	s_mov_b64 s[18:19], 0
                                        ; implicit-def: $sgpr20_sgpr21
	s_branch .LBB0_19
.LBB0_18:                               ;   in Loop: Header=BB0_19 Depth=3
	s_or_b64 exec, exec, s[22:23]
	s_and_b64 s[2:3], exec, s[20:21]
	s_or_b64 s[18:19], s[2:3], s[18:19]
	s_andn2_b64 exec, exec, s[18:19]
	s_cbranch_execz .LBB0_16
.LBB0_19:                               ;   Parent Loop BB0_4 Depth=1
                                        ;     Parent Loop BB0_17 Depth=2
                                        ; =>    This Inner Loop Header: Depth=3
	;;#ASMSTART
	flat_load_dword v6, v[3:4] glc slc
	"s_waitcnt"(0)
	;;#ASMEND
	v_cmp_eq_u32_e64 s[2:3], 0, v6
	s_or_b64 s[20:21], s[20:21], exec
	s_and_saveexec_b64 s[22:23], s[2:3]
	s_cbranch_execz .LBB0_18
; %bb.20:                               ;   in Loop: Header=BB0_19 Depth=3
	s_andn2_b64 s[20:21], s[20:21], exec
	s_branch .LBB0_18
.LBB0_21:                               ;   in Loop: Header=BB0_4 Depth=1
	s_or_b64 exec, exec, s[14:15]
	s_barrier
	s_and_saveexec_b64 s[2:3], vcc
	s_cbranch_execz .LBB0_2
; %bb.22:                               ;   in Loop: Header=BB0_4 Depth=1
	s_mov_b64 s[14:15], 0
	v_mov_b32_e32 v1, v0
.LBB0_23:                               ;   Parent Loop BB0_4 Depth=1
                                        ; =>  This Inner Loop Header: Depth=2
	v_lshlrev_b64 v[3:4], 2, v[1:2]
	v_mov_b32_e32 v6, s9
	v_add_co_u32_e32 v3, vcc, s8, v3
	v_addc_co_u32_e32 v4, vcc, v6, v4, vcc
	flat_store_dword v[3:4], v2
	s_waitcnt vmcnt(0)
	s_load_dword s16, s[4:5], 0xc
	s_waitcnt lgkmcnt(0)
	s_and_b32 s16, s16, 0xffff
	v_add_u32_e32 v1, s16, v1
	v_cmp_le_u32_e32 vcc, s6, v1
	s_or_b64 s[14:15], vcc, s[14:15]
	s_andn2_b64 exec, exec, s[14:15]
	s_cbranch_execnz .LBB0_23
	s_branch .LBB0_2
.LBB0_24:
	s_endpgm
	.section	.rodata,"a",@progbits
	.p2align	6, 0x0
	.amdhsa_kernel _Z17KernelGridBarrierN6hipcub11GridBarrierEi
		.amdhsa_group_segment_fixed_size 0
		.amdhsa_private_segment_fixed_size 0
		.amdhsa_kernarg_size 272
		.amdhsa_user_sgpr_count 6
		.amdhsa_user_sgpr_private_segment_buffer 1
		.amdhsa_user_sgpr_dispatch_ptr 0
		.amdhsa_user_sgpr_queue_ptr 0
		.amdhsa_user_sgpr_kernarg_segment_ptr 1
		.amdhsa_user_sgpr_dispatch_id 0
		.amdhsa_user_sgpr_flat_scratch_init 0
		.amdhsa_user_sgpr_private_segment_size 0
		.amdhsa_uses_dynamic_stack 0
		.amdhsa_system_sgpr_private_segment_wavefront_offset 0
		.amdhsa_system_sgpr_workgroup_id_x 1
		.amdhsa_system_sgpr_workgroup_id_y 0
		.amdhsa_system_sgpr_workgroup_id_z 0
		.amdhsa_system_sgpr_workgroup_info 0
		.amdhsa_system_vgpr_workitem_id 0
		.amdhsa_next_free_vgpr 7
		.amdhsa_next_free_sgpr 25
		.amdhsa_reserve_vcc 1
		.amdhsa_reserve_flat_scratch 0
		.amdhsa_float_round_mode_32 0
		.amdhsa_float_round_mode_16_64 0
		.amdhsa_float_denorm_mode_32 3
		.amdhsa_float_denorm_mode_16_64 3
		.amdhsa_dx10_clamp 1
		.amdhsa_ieee_mode 1
		.amdhsa_fp16_overflow 0
		.amdhsa_exception_fp_ieee_invalid_op 0
		.amdhsa_exception_fp_denorm_src 0
		.amdhsa_exception_fp_ieee_div_zero 0
		.amdhsa_exception_fp_ieee_overflow 0
		.amdhsa_exception_fp_ieee_underflow 0
		.amdhsa_exception_fp_ieee_inexact 0
		.amdhsa_exception_int_div_zero 0
	.end_amdhsa_kernel
	.text
.Lfunc_end0:
	.size	_Z17KernelGridBarrierN6hipcub11GridBarrierEi, .Lfunc_end0-_Z17KernelGridBarrierN6hipcub11GridBarrierEi
                                        ; -- End function
	.set _Z17KernelGridBarrierN6hipcub11GridBarrierEi.num_vgpr, 7
	.set _Z17KernelGridBarrierN6hipcub11GridBarrierEi.num_agpr, 0
	.set _Z17KernelGridBarrierN6hipcub11GridBarrierEi.numbered_sgpr, 25
	.set _Z17KernelGridBarrierN6hipcub11GridBarrierEi.num_named_barrier, 0
	.set _Z17KernelGridBarrierN6hipcub11GridBarrierEi.private_seg_size, 0
	.set _Z17KernelGridBarrierN6hipcub11GridBarrierEi.uses_vcc, 1
	.set _Z17KernelGridBarrierN6hipcub11GridBarrierEi.uses_flat_scratch, 0
	.set _Z17KernelGridBarrierN6hipcub11GridBarrierEi.has_dyn_sized_stack, 0
	.set _Z17KernelGridBarrierN6hipcub11GridBarrierEi.has_recursion, 0
	.set _Z17KernelGridBarrierN6hipcub11GridBarrierEi.has_indirect_call, 0
	.section	.AMDGPU.csdata,"",@progbits
; Kernel info:
; codeLenInByte = 576
; TotalNumSgprs: 29
; NumVgprs: 7
; ScratchSize: 0
; MemoryBound: 0
; FloatMode: 240
; IeeeMode: 1
; LDSByteSize: 0 bytes/workgroup (compile time only)
; SGPRBlocks: 3
; VGPRBlocks: 1
; NumSGPRsForWavesPerEU: 29
; NumVGPRsForWavesPerEU: 7
; Occupancy: 10
; WaveLimiterHint : 0
; COMPUTE_PGM_RSRC2:SCRATCH_EN: 0
; COMPUTE_PGM_RSRC2:USER_SGPR: 6
; COMPUTE_PGM_RSRC2:TRAP_HANDLER: 0
; COMPUTE_PGM_RSRC2:TGID_X_EN: 1
; COMPUTE_PGM_RSRC2:TGID_Y_EN: 0
; COMPUTE_PGM_RSRC2:TGID_Z_EN: 0
; COMPUTE_PGM_RSRC2:TIDIG_COMP_CNT: 0
	.section	.text._Z19KernelGridEvenShareILi256EjiEvPKT0_PS0_N6hipcub13GridEvenShareIT1_EE,"axG",@progbits,_Z19KernelGridEvenShareILi256EjiEvPKT0_PS0_N6hipcub13GridEvenShareIT1_EE,comdat
	.protected	_Z19KernelGridEvenShareILi256EjiEvPKT0_PS0_N6hipcub13GridEvenShareIT1_EE ; -- Begin function _Z19KernelGridEvenShareILi256EjiEvPKT0_PS0_N6hipcub13GridEvenShareIT1_EE
	.globl	_Z19KernelGridEvenShareILi256EjiEvPKT0_PS0_N6hipcub13GridEvenShareIT1_EE
	.p2align	8
	.type	_Z19KernelGridEvenShareILi256EjiEvPKT0_PS0_N6hipcub13GridEvenShareIT1_EE,@function
_Z19KernelGridEvenShareILi256EjiEvPKT0_PS0_N6hipcub13GridEvenShareIT1_EE: ; @_Z19KernelGridEvenShareILi256EjiEvPKT0_PS0_N6hipcub13GridEvenShareIT1_EE
; %bb.0:
	s_load_dword s2, s[4:5], 0x14
	s_add_u32 s0, s4, 16
	s_addc_u32 s1, s5, 0
	s_waitcnt lgkmcnt(0)
	s_cmp_ge_i32 s6, s2
	s_cbranch_scc0 .LBB1_3
; %bb.1:
	s_load_dword s2, s[4:5], 0x10
	s_waitcnt lgkmcnt(0)
	s_cmp_ge_i32 s6, s2
	s_cbranch_scc1 .LBB1_13
; %bb.2:
	s_load_dwordx4 s[8:11], s[0:1], 0xc
	s_waitcnt lgkmcnt(0)
	s_mul_i32 s0, s8, s6
	s_add_i32 s0, s0, s9
	s_add_i32 s1, s0, s8
	s_min_i32 s1, s10, s1
	s_cbranch_execz .LBB1_4
	s_branch .LBB1_5
.LBB1_3:
                                        ; implicit-def: $sgpr1
.LBB1_4:
	s_waitcnt lgkmcnt(0)
	s_load_dword s1, s[4:5], 0x18
	s_waitcnt lgkmcnt(0)
	s_mul_i32 s0, s1, s6
	s_add_i32 s1, s0, s1
.LBB1_5:
	s_waitcnt lgkmcnt(0)
	v_add_u32_e32 v1, s0, v0
	v_cmp_ge_i32_e32 vcc, s1, v1
	s_and_saveexec_b64 s[0:1], vcc
	s_cbranch_execz .LBB1_12
; %bb.6:
	s_load_dwordx4 s[0:3], s[4:5], 0x0
	v_ashrrev_i32_e32 v2, 31, v1
	v_lshlrev_b64 v[1:2], 2, v[1:2]
	s_waitcnt lgkmcnt(0)
	v_mov_b32_e32 v3, s1
	v_add_co_u32_e32 v1, vcc, s0, v1
	v_addc_co_u32_e32 v2, vcc, v3, v2, vcc
	global_load_dword v3, v[1:2], off
	v_mbcnt_lo_u32_b32 v1, -1, 0
	v_mbcnt_hi_u32_b32 v1, -1, v1
	v_lshlrev_b32_e32 v2, 2, v1
	v_cmp_eq_u32_e32 vcc, 0, v1
	s_waitcnt vmcnt(0)
	v_mov_b32_dpp v4, v3 quad_perm:[1,0,3,2] row_mask:0xf bank_mask:0xf
	v_add_u32_e32 v3, v4, v3
	s_nop 1
	v_mov_b32_dpp v4, v3 quad_perm:[2,3,0,1] row_mask:0xf bank_mask:0xf
	v_add_u32_e32 v3, v3, v4
	s_nop 1
	v_mov_b32_dpp v4, v3 row_ror:4 row_mask:0xf bank_mask:0xf
	v_add_u32_e32 v3, v3, v4
	s_nop 1
	v_mov_b32_dpp v4, v3 row_ror:8 row_mask:0xf bank_mask:0xf
	v_add_u32_e32 v3, v3, v4
	s_nop 1
	v_mov_b32_dpp v4, v3 row_bcast:15 row_mask:0xf bank_mask:0xf
	v_add_u32_e32 v3, v3, v4
	s_nop 1
	v_mov_b32_dpp v4, v3 row_bcast:31 row_mask:0xf bank_mask:0xf
	v_add_u32_e32 v3, v3, v4
	v_or_b32_e32 v4, 0xfc, v2
	ds_bpermute_b32 v3, v4, v3
	s_and_saveexec_b64 s[0:1], vcc
	s_cbranch_execz .LBB1_8
; %bb.7:
	v_lshrrev_b32_e32 v4, 4, v0
	v_and_b32_e32 v4, 60, v4
	s_waitcnt lgkmcnt(0)
	ds_write_b32 v4, v3
.LBB1_8:
	s_or_b64 exec, exec, s[0:1]
	v_cmp_gt_u32_e32 vcc, 64, v0
	s_waitcnt lgkmcnt(0)
	s_barrier
	s_and_saveexec_b64 s[0:1], vcc
	s_cbranch_execz .LBB1_10
; %bb.9:
	v_and_b32_e32 v3, 3, v1
	v_lshlrev_b32_e32 v4, 2, v3
	ds_read_b32 v4, v4
	v_cmp_ne_u32_e32 vcc, 3, v3
	v_addc_co_u32_e32 v1, vcc, 0, v1, vcc
	v_lshlrev_b32_e32 v1, 2, v1
	s_waitcnt lgkmcnt(0)
	ds_bpermute_b32 v1, v1, v4
	v_or_b32_e32 v2, 8, v2
	s_waitcnt lgkmcnt(0)
	v_add_u32_e32 v1, v1, v4
	ds_bpermute_b32 v2, v2, v1
	s_waitcnt lgkmcnt(0)
	v_add_u32_e32 v3, v2, v1
.LBB1_10:
	s_or_b64 exec, exec, s[0:1]
	s_mov_b32 s7, 0
	v_cmp_eq_u32_e32 vcc, 0, v0
	s_and_b64 exec, exec, vcc
	s_cbranch_execz .LBB1_12
; %bb.11:
	s_lshl_b64 s[0:1], s[6:7], 2
	s_add_u32 s0, s2, s0
	s_addc_u32 s1, s3, s1
	v_mov_b32_e32 v0, 0
	global_store_dword v0, v3, s[0:1]
.LBB1_12:
	s_endpgm
.LBB1_13:
	s_load_dwordx2 s[0:1], s[4:5], 0x2c
	s_cbranch_execz .LBB1_4
	s_branch .LBB1_5
	.section	.rodata,"a",@progbits
	.p2align	6, 0x0
	.amdhsa_kernel _Z19KernelGridEvenShareILi256EjiEvPKT0_PS0_N6hipcub13GridEvenShareIT1_EE
		.amdhsa_group_segment_fixed_size 16
		.amdhsa_private_segment_fixed_size 0
		.amdhsa_kernarg_size 56
		.amdhsa_user_sgpr_count 6
		.amdhsa_user_sgpr_private_segment_buffer 1
		.amdhsa_user_sgpr_dispatch_ptr 0
		.amdhsa_user_sgpr_queue_ptr 0
		.amdhsa_user_sgpr_kernarg_segment_ptr 1
		.amdhsa_user_sgpr_dispatch_id 0
		.amdhsa_user_sgpr_flat_scratch_init 0
		.amdhsa_user_sgpr_private_segment_size 0
		.amdhsa_uses_dynamic_stack 0
		.amdhsa_system_sgpr_private_segment_wavefront_offset 0
		.amdhsa_system_sgpr_workgroup_id_x 1
		.amdhsa_system_sgpr_workgroup_id_y 0
		.amdhsa_system_sgpr_workgroup_id_z 0
		.amdhsa_system_sgpr_workgroup_info 0
		.amdhsa_system_vgpr_workitem_id 0
		.amdhsa_next_free_vgpr 5
		.amdhsa_next_free_sgpr 12
		.amdhsa_reserve_vcc 1
		.amdhsa_reserve_flat_scratch 0
		.amdhsa_float_round_mode_32 0
		.amdhsa_float_round_mode_16_64 0
		.amdhsa_float_denorm_mode_32 3
		.amdhsa_float_denorm_mode_16_64 3
		.amdhsa_dx10_clamp 1
		.amdhsa_ieee_mode 1
		.amdhsa_fp16_overflow 0
		.amdhsa_exception_fp_ieee_invalid_op 0
		.amdhsa_exception_fp_denorm_src 0
		.amdhsa_exception_fp_ieee_div_zero 0
		.amdhsa_exception_fp_ieee_overflow 0
		.amdhsa_exception_fp_ieee_underflow 0
		.amdhsa_exception_fp_ieee_inexact 0
		.amdhsa_exception_int_div_zero 0
	.end_amdhsa_kernel
	.section	.text._Z19KernelGridEvenShareILi256EjiEvPKT0_PS0_N6hipcub13GridEvenShareIT1_EE,"axG",@progbits,_Z19KernelGridEvenShareILi256EjiEvPKT0_PS0_N6hipcub13GridEvenShareIT1_EE,comdat
.Lfunc_end1:
	.size	_Z19KernelGridEvenShareILi256EjiEvPKT0_PS0_N6hipcub13GridEvenShareIT1_EE, .Lfunc_end1-_Z19KernelGridEvenShareILi256EjiEvPKT0_PS0_N6hipcub13GridEvenShareIT1_EE
                                        ; -- End function
	.set _Z19KernelGridEvenShareILi256EjiEvPKT0_PS0_N6hipcub13GridEvenShareIT1_EE.num_vgpr, 5
	.set _Z19KernelGridEvenShareILi256EjiEvPKT0_PS0_N6hipcub13GridEvenShareIT1_EE.num_agpr, 0
	.set _Z19KernelGridEvenShareILi256EjiEvPKT0_PS0_N6hipcub13GridEvenShareIT1_EE.numbered_sgpr, 12
	.set _Z19KernelGridEvenShareILi256EjiEvPKT0_PS0_N6hipcub13GridEvenShareIT1_EE.num_named_barrier, 0
	.set _Z19KernelGridEvenShareILi256EjiEvPKT0_PS0_N6hipcub13GridEvenShareIT1_EE.private_seg_size, 0
	.set _Z19KernelGridEvenShareILi256EjiEvPKT0_PS0_N6hipcub13GridEvenShareIT1_EE.uses_vcc, 1
	.set _Z19KernelGridEvenShareILi256EjiEvPKT0_PS0_N6hipcub13GridEvenShareIT1_EE.uses_flat_scratch, 0
	.set _Z19KernelGridEvenShareILi256EjiEvPKT0_PS0_N6hipcub13GridEvenShareIT1_EE.has_dyn_sized_stack, 0
	.set _Z19KernelGridEvenShareILi256EjiEvPKT0_PS0_N6hipcub13GridEvenShareIT1_EE.has_recursion, 0
	.set _Z19KernelGridEvenShareILi256EjiEvPKT0_PS0_N6hipcub13GridEvenShareIT1_EE.has_indirect_call, 0
	.section	.AMDGPU.csdata,"",@progbits
; Kernel info:
; codeLenInByte = 492
; TotalNumSgprs: 16
; NumVgprs: 5
; ScratchSize: 0
; MemoryBound: 0
; FloatMode: 240
; IeeeMode: 1
; LDSByteSize: 16 bytes/workgroup (compile time only)
; SGPRBlocks: 1
; VGPRBlocks: 1
; NumSGPRsForWavesPerEU: 16
; NumVGPRsForWavesPerEU: 5
; Occupancy: 10
; WaveLimiterHint : 0
; COMPUTE_PGM_RSRC2:SCRATCH_EN: 0
; COMPUTE_PGM_RSRC2:USER_SGPR: 6
; COMPUTE_PGM_RSRC2:TRAP_HANDLER: 0
; COMPUTE_PGM_RSRC2:TGID_X_EN: 1
; COMPUTE_PGM_RSRC2:TGID_Y_EN: 0
; COMPUTE_PGM_RSRC2:TGID_Z_EN: 0
; COMPUTE_PGM_RSRC2:TIDIG_COMP_CNT: 0
	.section	.text._Z19KernelGridQueueInitIiEvN6hipcub9GridQueueIT_EE,"axG",@progbits,_Z19KernelGridQueueInitIiEvN6hipcub9GridQueueIT_EE,comdat
	.protected	_Z19KernelGridQueueInitIiEvN6hipcub9GridQueueIT_EE ; -- Begin function _Z19KernelGridQueueInitIiEvN6hipcub9GridQueueIT_EE
	.globl	_Z19KernelGridQueueInitIiEvN6hipcub9GridQueueIT_EE
	.p2align	8
	.type	_Z19KernelGridQueueInitIiEvN6hipcub9GridQueueIT_EE,@function
_Z19KernelGridQueueInitIiEvN6hipcub9GridQueueIT_EE: ; @_Z19KernelGridQueueInitIiEvN6hipcub9GridQueueIT_EE
; %bb.0:
	v_or_b32_e32 v0, s6, v0
	v_cmp_eq_u32_e32 vcc, 0, v0
	s_and_saveexec_b64 s[0:1], vcc
	s_cbranch_execz .LBB2_2
; %bb.1:
	s_load_dwordx2 s[0:1], s[4:5], 0x0
	v_mov_b32_e32 v0, 0
	s_waitcnt lgkmcnt(0)
	global_store_dword v0, v0, s[0:1] offset:4
.LBB2_2:
	s_endpgm
	.section	.rodata,"a",@progbits
	.p2align	6, 0x0
	.amdhsa_kernel _Z19KernelGridQueueInitIiEvN6hipcub9GridQueueIT_EE
		.amdhsa_group_segment_fixed_size 0
		.amdhsa_private_segment_fixed_size 0
		.amdhsa_kernarg_size 8
		.amdhsa_user_sgpr_count 6
		.amdhsa_user_sgpr_private_segment_buffer 1
		.amdhsa_user_sgpr_dispatch_ptr 0
		.amdhsa_user_sgpr_queue_ptr 0
		.amdhsa_user_sgpr_kernarg_segment_ptr 1
		.amdhsa_user_sgpr_dispatch_id 0
		.amdhsa_user_sgpr_flat_scratch_init 0
		.amdhsa_user_sgpr_private_segment_size 0
		.amdhsa_uses_dynamic_stack 0
		.amdhsa_system_sgpr_private_segment_wavefront_offset 0
		.amdhsa_system_sgpr_workgroup_id_x 1
		.amdhsa_system_sgpr_workgroup_id_y 0
		.amdhsa_system_sgpr_workgroup_id_z 0
		.amdhsa_system_sgpr_workgroup_info 0
		.amdhsa_system_vgpr_workitem_id 0
		.amdhsa_next_free_vgpr 1
		.amdhsa_next_free_sgpr 7
		.amdhsa_reserve_vcc 1
		.amdhsa_reserve_flat_scratch 0
		.amdhsa_float_round_mode_32 0
		.amdhsa_float_round_mode_16_64 0
		.amdhsa_float_denorm_mode_32 3
		.amdhsa_float_denorm_mode_16_64 3
		.amdhsa_dx10_clamp 1
		.amdhsa_ieee_mode 1
		.amdhsa_fp16_overflow 0
		.amdhsa_exception_fp_ieee_invalid_op 0
		.amdhsa_exception_fp_denorm_src 0
		.amdhsa_exception_fp_ieee_div_zero 0
		.amdhsa_exception_fp_ieee_overflow 0
		.amdhsa_exception_fp_ieee_underflow 0
		.amdhsa_exception_fp_ieee_inexact 0
		.amdhsa_exception_int_div_zero 0
	.end_amdhsa_kernel
	.section	.text._Z19KernelGridQueueInitIiEvN6hipcub9GridQueueIT_EE,"axG",@progbits,_Z19KernelGridQueueInitIiEvN6hipcub9GridQueueIT_EE,comdat
.Lfunc_end2:
	.size	_Z19KernelGridQueueInitIiEvN6hipcub9GridQueueIT_EE, .Lfunc_end2-_Z19KernelGridQueueInitIiEvN6hipcub9GridQueueIT_EE
                                        ; -- End function
	.set _Z19KernelGridQueueInitIiEvN6hipcub9GridQueueIT_EE.num_vgpr, 1
	.set _Z19KernelGridQueueInitIiEvN6hipcub9GridQueueIT_EE.num_agpr, 0
	.set _Z19KernelGridQueueInitIiEvN6hipcub9GridQueueIT_EE.numbered_sgpr, 7
	.set _Z19KernelGridQueueInitIiEvN6hipcub9GridQueueIT_EE.num_named_barrier, 0
	.set _Z19KernelGridQueueInitIiEvN6hipcub9GridQueueIT_EE.private_seg_size, 0
	.set _Z19KernelGridQueueInitIiEvN6hipcub9GridQueueIT_EE.uses_vcc, 1
	.set _Z19KernelGridQueueInitIiEvN6hipcub9GridQueueIT_EE.uses_flat_scratch, 0
	.set _Z19KernelGridQueueInitIiEvN6hipcub9GridQueueIT_EE.has_dyn_sized_stack, 0
	.set _Z19KernelGridQueueInitIiEvN6hipcub9GridQueueIT_EE.has_recursion, 0
	.set _Z19KernelGridQueueInitIiEvN6hipcub9GridQueueIT_EE.has_indirect_call, 0
	.section	.AMDGPU.csdata,"",@progbits
; Kernel info:
; codeLenInByte = 44
; TotalNumSgprs: 11
; NumVgprs: 1
; ScratchSize: 0
; MemoryBound: 0
; FloatMode: 240
; IeeeMode: 1
; LDSByteSize: 0 bytes/workgroup (compile time only)
; SGPRBlocks: 1
; VGPRBlocks: 0
; NumSGPRsForWavesPerEU: 11
; NumVGPRsForWavesPerEU: 1
; Occupancy: 10
; WaveLimiterHint : 0
; COMPUTE_PGM_RSRC2:SCRATCH_EN: 0
; COMPUTE_PGM_RSRC2:USER_SGPR: 6
; COMPUTE_PGM_RSRC2:TRAP_HANDLER: 0
; COMPUTE_PGM_RSRC2:TGID_X_EN: 1
; COMPUTE_PGM_RSRC2:TGID_Y_EN: 0
; COMPUTE_PGM_RSRC2:TGID_Z_EN: 0
; COMPUTE_PGM_RSRC2:TIDIG_COMP_CNT: 0
	.section	.text._Z15KernelGridQueueILi256EjiEvPKT0_PS0_T1_N6hipcub9GridQueueIS4_EE,"axG",@progbits,_Z15KernelGridQueueILi256EjiEvPKT0_PS0_T1_N6hipcub9GridQueueIS4_EE,comdat
	.protected	_Z15KernelGridQueueILi256EjiEvPKT0_PS0_T1_N6hipcub9GridQueueIS4_EE ; -- Begin function _Z15KernelGridQueueILi256EjiEvPKT0_PS0_T1_N6hipcub9GridQueueIS4_EE
	.globl	_Z15KernelGridQueueILi256EjiEvPKT0_PS0_T1_N6hipcub9GridQueueIS4_EE
	.p2align	8
	.type	_Z15KernelGridQueueILi256EjiEvPKT0_PS0_T1_N6hipcub9GridQueueIS4_EE,@function
_Z15KernelGridQueueILi256EjiEvPKT0_PS0_T1_N6hipcub9GridQueueIS4_EE: ; @_Z15KernelGridQueueILi256EjiEvPKT0_PS0_T1_N6hipcub9GridQueueIS4_EE
; %bb.0:
	v_cmp_eq_u32_e64 s[0:1], 0, v0
	s_and_saveexec_b64 s[2:3], s[0:1]
	s_cbranch_execz .LBB3_4
; %bb.1:
	s_mov_b64 s[8:9], exec
	v_mbcnt_lo_u32_b32 v1, s8, 0
	v_mbcnt_hi_u32_b32 v1, s9, v1
	v_cmp_eq_u32_e32 vcc, 0, v1
                                        ; implicit-def: $vgpr2
	s_and_saveexec_b64 s[6:7], vcc
	s_cbranch_execz .LBB3_3
; %bb.2:
	s_load_dwordx2 s[10:11], s[4:5], 0x18
	s_bcnt1_i32_b64 s8, s[8:9]
	v_mov_b32_e32 v2, 0
	v_mov_b32_e32 v3, s8
	s_waitcnt lgkmcnt(0)
	global_atomic_add v2, v2, v3, s[10:11] offset:4 glc
.LBB3_3:
	s_or_b64 exec, exec, s[6:7]
	s_waitcnt vmcnt(0)
	v_readfirstlane_b32 s6, v2
	v_add_u32_e32 v1, s6, v1
	v_mov_b32_e32 v2, 0
	ds_write_b32 v2, v1 offset:16
.LBB3_4:
	s_or_b64 exec, exec, s[2:3]
	v_mov_b32_e32 v1, 0
	s_load_dword s2, s[4:5], 0x10
	s_waitcnt lgkmcnt(0)
	s_barrier
	ds_read_b32 v1, v1 offset:16
	s_waitcnt lgkmcnt(0)
	v_cmp_lt_i32_e32 vcc, s2, v1
	v_cmp_gt_i32_e64 s[2:3], 0, v1
	s_or_b64 s[2:3], vcc, s[2:3]
	s_and_b64 vcc, exec, s[2:3]
	s_cbranch_vccnz .LBB3_11
; %bb.5:
	s_load_dwordx4 s[4:7], s[4:5], 0x0
	v_lshl_add_u32 v1, v1, 8, v0
	v_ashrrev_i32_e32 v2, 31, v1
	v_lshlrev_b64 v[1:2], 2, v[1:2]
	s_waitcnt lgkmcnt(0)
	v_mov_b32_e32 v3, s5
	v_add_co_u32_e32 v1, vcc, s4, v1
	v_addc_co_u32_e32 v2, vcc, v3, v2, vcc
	global_load_dword v2, v[1:2], off
	v_mbcnt_lo_u32_b32 v1, -1, 0
	v_mbcnt_hi_u32_b32 v1, -1, v1
	v_lshlrev_b32_e32 v3, 2, v1
	v_cmp_eq_u32_e32 vcc, 0, v1
	s_waitcnt vmcnt(0)
	v_mov_b32_dpp v4, v2 quad_perm:[1,0,3,2] row_mask:0xf bank_mask:0xf
	v_add_u32_e32 v2, v4, v2
	s_nop 1
	v_mov_b32_dpp v4, v2 quad_perm:[2,3,0,1] row_mask:0xf bank_mask:0xf
	v_add_u32_e32 v2, v2, v4
	s_nop 1
	v_mov_b32_dpp v4, v2 row_ror:4 row_mask:0xf bank_mask:0xf
	v_add_u32_e32 v2, v2, v4
	s_nop 1
	v_mov_b32_dpp v4, v2 row_ror:8 row_mask:0xf bank_mask:0xf
	v_add_u32_e32 v2, v2, v4
	s_nop 1
	v_mov_b32_dpp v4, v2 row_bcast:15 row_mask:0xf bank_mask:0xf
	v_add_u32_e32 v2, v2, v4
	s_nop 1
	v_mov_b32_dpp v4, v2 row_bcast:31 row_mask:0xf bank_mask:0xf
	v_add_u32_e32 v2, v2, v4
	v_or_b32_e32 v4, 0xfc, v3
	ds_bpermute_b32 v2, v4, v2
	s_and_saveexec_b64 s[2:3], vcc
	s_cbranch_execz .LBB3_7
; %bb.6:
	v_lshrrev_b32_e32 v4, 4, v0
	v_and_b32_e32 v4, 60, v4
	s_waitcnt lgkmcnt(0)
	ds_write_b32 v4, v2
.LBB3_7:
	s_or_b64 exec, exec, s[2:3]
	v_cmp_gt_u32_e32 vcc, 64, v0
	s_waitcnt lgkmcnt(0)
	s_barrier
	s_and_saveexec_b64 s[2:3], vcc
	s_cbranch_execz .LBB3_9
; %bb.8:
	v_and_b32_e32 v0, 3, v1
	v_lshlrev_b32_e32 v2, 2, v0
	ds_read_b32 v2, v2
	v_cmp_ne_u32_e32 vcc, 3, v0
	v_addc_co_u32_e32 v0, vcc, 0, v1, vcc
	v_lshlrev_b32_e32 v0, 2, v0
	s_waitcnt lgkmcnt(0)
	ds_bpermute_b32 v0, v0, v2
	v_or_b32_e32 v1, 8, v3
	s_waitcnt lgkmcnt(0)
	v_add_u32_e32 v0, v0, v2
	ds_bpermute_b32 v1, v1, v0
	s_waitcnt lgkmcnt(0)
	v_add_u32_e32 v2, v1, v0
.LBB3_9:
	s_or_b64 exec, exec, s[2:3]
	s_and_saveexec_b64 s[2:3], s[0:1]
	s_cbranch_execz .LBB3_11
; %bb.10:
	v_mov_b32_e32 v0, 0
	ds_read_b32 v0, v0 offset:16
	v_mov_b32_e32 v3, s7
	s_waitcnt lgkmcnt(0)
	v_ashrrev_i32_e32 v1, 31, v0
	v_lshlrev_b64 v[0:1], 2, v[0:1]
	v_add_co_u32_e32 v0, vcc, s6, v0
	v_addc_co_u32_e32 v1, vcc, v3, v1, vcc
	global_store_dword v[0:1], v2, off
.LBB3_11:
	s_endpgm
	.section	.rodata,"a",@progbits
	.p2align	6, 0x0
	.amdhsa_kernel _Z15KernelGridQueueILi256EjiEvPKT0_PS0_T1_N6hipcub9GridQueueIS4_EE
		.amdhsa_group_segment_fixed_size 20
		.amdhsa_private_segment_fixed_size 0
		.amdhsa_kernarg_size 32
		.amdhsa_user_sgpr_count 6
		.amdhsa_user_sgpr_private_segment_buffer 1
		.amdhsa_user_sgpr_dispatch_ptr 0
		.amdhsa_user_sgpr_queue_ptr 0
		.amdhsa_user_sgpr_kernarg_segment_ptr 1
		.amdhsa_user_sgpr_dispatch_id 0
		.amdhsa_user_sgpr_flat_scratch_init 0
		.amdhsa_user_sgpr_private_segment_size 0
		.amdhsa_uses_dynamic_stack 0
		.amdhsa_system_sgpr_private_segment_wavefront_offset 0
		.amdhsa_system_sgpr_workgroup_id_x 1
		.amdhsa_system_sgpr_workgroup_id_y 0
		.amdhsa_system_sgpr_workgroup_id_z 0
		.amdhsa_system_sgpr_workgroup_info 0
		.amdhsa_system_vgpr_workitem_id 0
		.amdhsa_next_free_vgpr 5
		.amdhsa_next_free_sgpr 12
		.amdhsa_reserve_vcc 1
		.amdhsa_reserve_flat_scratch 0
		.amdhsa_float_round_mode_32 0
		.amdhsa_float_round_mode_16_64 0
		.amdhsa_float_denorm_mode_32 3
		.amdhsa_float_denorm_mode_16_64 3
		.amdhsa_dx10_clamp 1
		.amdhsa_ieee_mode 1
		.amdhsa_fp16_overflow 0
		.amdhsa_exception_fp_ieee_invalid_op 0
		.amdhsa_exception_fp_denorm_src 0
		.amdhsa_exception_fp_ieee_div_zero 0
		.amdhsa_exception_fp_ieee_overflow 0
		.amdhsa_exception_fp_ieee_underflow 0
		.amdhsa_exception_fp_ieee_inexact 0
		.amdhsa_exception_int_div_zero 0
	.end_amdhsa_kernel
	.section	.text._Z15KernelGridQueueILi256EjiEvPKT0_PS0_T1_N6hipcub9GridQueueIS4_EE,"axG",@progbits,_Z15KernelGridQueueILi256EjiEvPKT0_PS0_T1_N6hipcub9GridQueueIS4_EE,comdat
.Lfunc_end3:
	.size	_Z15KernelGridQueueILi256EjiEvPKT0_PS0_T1_N6hipcub9GridQueueIS4_EE, .Lfunc_end3-_Z15KernelGridQueueILi256EjiEvPKT0_PS0_T1_N6hipcub9GridQueueIS4_EE
                                        ; -- End function
	.set _Z15KernelGridQueueILi256EjiEvPKT0_PS0_T1_N6hipcub9GridQueueIS4_EE.num_vgpr, 5
	.set _Z15KernelGridQueueILi256EjiEvPKT0_PS0_T1_N6hipcub9GridQueueIS4_EE.num_agpr, 0
	.set _Z15KernelGridQueueILi256EjiEvPKT0_PS0_T1_N6hipcub9GridQueueIS4_EE.numbered_sgpr, 12
	.set _Z15KernelGridQueueILi256EjiEvPKT0_PS0_T1_N6hipcub9GridQueueIS4_EE.num_named_barrier, 0
	.set _Z15KernelGridQueueILi256EjiEvPKT0_PS0_T1_N6hipcub9GridQueueIS4_EE.private_seg_size, 0
	.set _Z15KernelGridQueueILi256EjiEvPKT0_PS0_T1_N6hipcub9GridQueueIS4_EE.uses_vcc, 1
	.set _Z15KernelGridQueueILi256EjiEvPKT0_PS0_T1_N6hipcub9GridQueueIS4_EE.uses_flat_scratch, 0
	.set _Z15KernelGridQueueILi256EjiEvPKT0_PS0_T1_N6hipcub9GridQueueIS4_EE.has_dyn_sized_stack, 0
	.set _Z15KernelGridQueueILi256EjiEvPKT0_PS0_T1_N6hipcub9GridQueueIS4_EE.has_recursion, 0
	.set _Z15KernelGridQueueILi256EjiEvPKT0_PS0_T1_N6hipcub9GridQueueIS4_EE.has_indirect_call, 0
	.section	.AMDGPU.csdata,"",@progbits
; Kernel info:
; codeLenInByte = 540
; TotalNumSgprs: 16
; NumVgprs: 5
; ScratchSize: 0
; MemoryBound: 0
; FloatMode: 240
; IeeeMode: 1
; LDSByteSize: 20 bytes/workgroup (compile time only)
; SGPRBlocks: 1
; VGPRBlocks: 1
; NumSGPRsForWavesPerEU: 16
; NumVGPRsForWavesPerEU: 5
; Occupancy: 10
; WaveLimiterHint : 0
; COMPUTE_PGM_RSRC2:SCRATCH_EN: 0
; COMPUTE_PGM_RSRC2:USER_SGPR: 6
; COMPUTE_PGM_RSRC2:TRAP_HANDLER: 0
; COMPUTE_PGM_RSRC2:TGID_X_EN: 1
; COMPUTE_PGM_RSRC2:TGID_Y_EN: 0
; COMPUTE_PGM_RSRC2:TGID_Z_EN: 0
; COMPUTE_PGM_RSRC2:TIDIG_COMP_CNT: 0
	.section	.AMDGPU.gpr_maximums,"",@progbits
	.set amdgpu.max_num_vgpr, 0
	.set amdgpu.max_num_agpr, 0
	.set amdgpu.max_num_sgpr, 0
	.section	.AMDGPU.csdata,"",@progbits
	.type	__hip_cuid_828e8d167a3193ad,@object ; @__hip_cuid_828e8d167a3193ad
	.section	.bss,"aw",@nobits
	.globl	__hip_cuid_828e8d167a3193ad
__hip_cuid_828e8d167a3193ad:
	.byte	0                               ; 0x0
	.size	__hip_cuid_828e8d167a3193ad, 1

	.ident	"AMD clang version 22.0.0git (https://github.com/RadeonOpenCompute/llvm-project roc-7.2.4 26084 f58b06dce1f9c15707c5f808fd002e18c2accf7e)"
	.section	".note.GNU-stack","",@progbits
	.addrsig
	.addrsig_sym __hip_cuid_828e8d167a3193ad
	.amdgpu_metadata
---
amdhsa.kernels:
  - .args:
      - .address_space:  global
        .offset:         0
        .size:           8
        .value_kind:     global_buffer
      - .offset:         8
        .size:           4
        .value_kind:     by_value
      - .offset:         16
        .size:           4
        .value_kind:     hidden_block_count_x
      - .offset:         20
        .size:           4
        .value_kind:     hidden_block_count_y
      - .offset:         24
        .size:           4
        .value_kind:     hidden_block_count_z
      - .offset:         28
        .size:           2
        .value_kind:     hidden_group_size_x
      - .offset:         30
        .size:           2
        .value_kind:     hidden_group_size_y
      - .offset:         32
        .size:           2
        .value_kind:     hidden_group_size_z
      - .offset:         34
        .size:           2
        .value_kind:     hidden_remainder_x
      - .offset:         36
        .size:           2
        .value_kind:     hidden_remainder_y
      - .offset:         38
        .size:           2
        .value_kind:     hidden_remainder_z
      - .offset:         56
        .size:           8
        .value_kind:     hidden_global_offset_x
      - .offset:         64
        .size:           8
        .value_kind:     hidden_global_offset_y
      - .offset:         72
        .size:           8
        .value_kind:     hidden_global_offset_z
      - .offset:         80
        .size:           2
        .value_kind:     hidden_grid_dims
    .group_segment_fixed_size: 0
    .kernarg_segment_align: 8
    .kernarg_segment_size: 272
    .language:       OpenCL C
    .language_version:
      - 2
      - 0
    .max_flat_workgroup_size: 1024
    .name:           _Z17KernelGridBarrierN6hipcub11GridBarrierEi
    .private_segment_fixed_size: 0
    .sgpr_count:     29
    .sgpr_spill_count: 0
    .symbol:         _Z17KernelGridBarrierN6hipcub11GridBarrierEi.kd
    .uniform_work_group_size: 1
    .uses_dynamic_stack: false
    .vgpr_count:     7
    .vgpr_spill_count: 0
    .wavefront_size: 64
  - .args:
      - .address_space:  global
        .offset:         0
        .size:           8
        .value_kind:     global_buffer
      - .address_space:  global
        .offset:         8
        .size:           8
        .value_kind:     global_buffer
      - .offset:         16
        .size:           40
        .value_kind:     by_value
    .group_segment_fixed_size: 16
    .kernarg_segment_align: 8
    .kernarg_segment_size: 56
    .language:       OpenCL C
    .language_version:
      - 2
      - 0
    .max_flat_workgroup_size: 1024
    .name:           _Z19KernelGridEvenShareILi256EjiEvPKT0_PS0_N6hipcub13GridEvenShareIT1_EE
    .private_segment_fixed_size: 0
    .sgpr_count:     16
    .sgpr_spill_count: 0
    .symbol:         _Z19KernelGridEvenShareILi256EjiEvPKT0_PS0_N6hipcub13GridEvenShareIT1_EE.kd
    .uniform_work_group_size: 1
    .uses_dynamic_stack: false
    .vgpr_count:     5
    .vgpr_spill_count: 0
    .wavefront_size: 64
  - .args:
      - .address_space:  global
        .offset:         0
        .size:           8
        .value_kind:     global_buffer
    .group_segment_fixed_size: 0
    .kernarg_segment_align: 8
    .kernarg_segment_size: 8
    .language:       OpenCL C
    .language_version:
      - 2
      - 0
    .max_flat_workgroup_size: 1024
    .name:           _Z19KernelGridQueueInitIiEvN6hipcub9GridQueueIT_EE
    .private_segment_fixed_size: 0
    .sgpr_count:     11
    .sgpr_spill_count: 0
    .symbol:         _Z19KernelGridQueueInitIiEvN6hipcub9GridQueueIT_EE.kd
    .uniform_work_group_size: 1
    .uses_dynamic_stack: false
    .vgpr_count:     1
    .vgpr_spill_count: 0
    .wavefront_size: 64
  - .args:
      - .address_space:  global
        .offset:         0
        .size:           8
        .value_kind:     global_buffer
      - .address_space:  global
        .offset:         8
        .size:           8
        .value_kind:     global_buffer
      - .offset:         16
        .size:           4
        .value_kind:     by_value
      - .address_space:  global
        .offset:         24
        .size:           8
        .value_kind:     global_buffer
    .group_segment_fixed_size: 20
    .kernarg_segment_align: 8
    .kernarg_segment_size: 32
    .language:       OpenCL C
    .language_version:
      - 2
      - 0
    .max_flat_workgroup_size: 1024
    .name:           _Z15KernelGridQueueILi256EjiEvPKT0_PS0_T1_N6hipcub9GridQueueIS4_EE
    .private_segment_fixed_size: 0
    .sgpr_count:     16
    .sgpr_spill_count: 0
    .symbol:         _Z15KernelGridQueueILi256EjiEvPKT0_PS0_T1_N6hipcub9GridQueueIS4_EE.kd
    .uniform_work_group_size: 1
    .uses_dynamic_stack: false
    .vgpr_count:     5
    .vgpr_spill_count: 0
    .wavefront_size: 64
amdhsa.target:   amdgcn-amd-amdhsa--gfx906
amdhsa.version:
  - 1
  - 2
...

	.end_amdgpu_metadata
